;; amdgpu-corpus repo=ROCm/rocFFT kind=compiled arch=gfx906 opt=O3
	.text
	.amdgcn_target "amdgcn-amd-amdhsa--gfx906"
	.amdhsa_code_object_version 6
	.protected	fft_rtc_fwd_len343_factors_7_7_7_wgs_245_tpt_49_sp_op_CI_CI_sbcc_twdbase8_3step ; -- Begin function fft_rtc_fwd_len343_factors_7_7_7_wgs_245_tpt_49_sp_op_CI_CI_sbcc_twdbase8_3step
	.globl	fft_rtc_fwd_len343_factors_7_7_7_wgs_245_tpt_49_sp_op_CI_CI_sbcc_twdbase8_3step
	.p2align	8
	.type	fft_rtc_fwd_len343_factors_7_7_7_wgs_245_tpt_49_sp_op_CI_CI_sbcc_twdbase8_3step,@function
fft_rtc_fwd_len343_factors_7_7_7_wgs_245_tpt_49_sp_op_CI_CI_sbcc_twdbase8_3step: ; @fft_rtc_fwd_len343_factors_7_7_7_wgs_245_tpt_49_sp_op_CI_CI_sbcc_twdbase8_3step
; %bb.0:
	s_load_dwordx4 s[0:3], s[4:5], 0x18
	s_load_dwordx2 s[30:31], s[4:5], 0x28
	s_mov_b32 s7, 0
	s_mov_b64 s[24:25], 0
	s_waitcnt lgkmcnt(0)
	s_load_dwordx2 s[28:29], s[0:1], 0x8
	s_waitcnt lgkmcnt(0)
	s_add_u32 s8, s28, -1
	s_addc_u32 s9, s29, -1
	s_add_u32 s10, 0, 0x3330c000
	s_addc_u32 s11, 0, 0xb3
	s_mul_hi_u32 s13, s10, -5
	s_add_i32 s11, s11, 0x33333280
	s_sub_i32 s13, s13, s10
	s_mul_i32 s16, s11, -5
	s_mul_i32 s12, s10, -5
	s_add_i32 s13, s13, s16
	s_mul_hi_u32 s14, s11, s12
	s_mul_i32 s15, s11, s12
	s_mul_i32 s17, s10, s13
	s_mul_hi_u32 s12, s10, s12
	s_mul_hi_u32 s16, s10, s13
	s_add_u32 s12, s12, s17
	s_addc_u32 s16, 0, s16
	s_add_u32 s12, s12, s15
	s_mul_hi_u32 s17, s11, s13
	s_addc_u32 s12, s16, s14
	s_addc_u32 s14, s17, 0
	s_mul_i32 s13, s11, s13
	s_add_u32 s12, s12, s13
	v_mov_b32_e32 v1, s12
	s_addc_u32 s13, 0, s14
	v_add_co_u32_e32 v1, vcc, s10, v1
	s_cmp_lg_u64 vcc, 0
	s_addc_u32 s10, s11, s13
	v_readfirstlane_b32 s13, v1
	s_mul_i32 s12, s8, s10
	s_mul_hi_u32 s14, s8, s13
	s_mul_hi_u32 s11, s8, s10
	s_add_u32 s12, s14, s12
	s_addc_u32 s11, 0, s11
	s_mul_hi_u32 s15, s9, s13
	s_mul_i32 s13, s9, s13
	s_add_u32 s12, s12, s13
	s_mul_hi_u32 s14, s9, s10
	s_addc_u32 s11, s11, s15
	s_addc_u32 s12, s14, 0
	s_mul_i32 s10, s9, s10
	s_add_u32 s10, s11, s10
	s_addc_u32 s11, 0, s12
	s_add_u32 s12, s10, 1
	s_addc_u32 s13, s11, 0
	s_add_u32 s14, s10, 2
	s_mul_i32 s16, s11, 5
	s_mul_hi_u32 s17, s10, 5
	s_addc_u32 s15, s11, 0
	s_add_i32 s17, s17, s16
	s_mul_i32 s16, s10, 5
	v_mov_b32_e32 v1, s16
	v_sub_co_u32_e32 v1, vcc, s8, v1
	s_cmp_lg_u64 vcc, 0
	s_subb_u32 s8, s9, s17
	v_subrev_co_u32_e32 v2, vcc, 5, v1
	s_cmp_lg_u64 vcc, 0
	s_subb_u32 s9, s8, 0
	v_readfirstlane_b32 s16, v2
	s_cmp_gt_u32 s16, 4
	s_cselect_b32 s16, -1, 0
	s_cmp_eq_u32 s9, 0
	s_cselect_b32 s9, s16, -1
	s_cmp_lg_u32 s9, 0
	s_cselect_b32 s9, s14, s12
	s_cselect_b32 s12, s15, s13
	v_readfirstlane_b32 s13, v1
	s_cmp_gt_u32 s13, 4
	s_cselect_b32 s13, -1, 0
	s_cmp_eq_u32 s8, 0
	s_cselect_b32 s8, s13, -1
	s_cmp_lg_u32 s8, 0
	s_cselect_b32 s9, s9, s10
	s_cselect_b32 s8, s12, s11
	s_add_u32 s36, s9, 1
	s_addc_u32 s37, s8, 0
	v_mov_b32_e32 v1, s36
	v_mov_b32_e32 v2, s37
	v_cmp_lt_u64_e32 vcc, s[6:7], v[1:2]
	s_cbranch_vccnz .LBB0_2
; %bb.1:
	v_cvt_f32_u32_e32 v1, s36
	s_sub_i32 s8, 0, s36
	s_mov_b32 s25, s7
	v_rcp_iflag_f32_e32 v1, v1
	v_mul_f32_e32 v1, 0x4f7ffffe, v1
	v_cvt_u32_f32_e32 v1, v1
	v_readfirstlane_b32 s9, v1
	s_mul_i32 s8, s8, s9
	s_mul_hi_u32 s8, s9, s8
	s_add_i32 s9, s9, s8
	s_mul_hi_u32 s8, s6, s9
	s_mul_i32 s10, s8, s36
	s_sub_i32 s10, s6, s10
	s_add_i32 s9, s8, 1
	s_sub_i32 s11, s10, s36
	s_cmp_ge_u32 s10, s36
	s_cselect_b32 s8, s9, s8
	s_cselect_b32 s10, s11, s10
	s_add_i32 s9, s8, 1
	s_cmp_ge_u32 s10, s36
	s_cselect_b32 s24, s9, s8
.LBB0_2:
	s_load_dwordx4 s[12:15], s[4:5], 0x60
	s_load_dwordx4 s[20:23], s[2:3], 0x0
	;; [unrolled: 1-line block ×3, first 2 shown]
	s_load_dwordx2 s[26:27], s[4:5], 0x0
	s_load_dwordx4 s[16:19], s[4:5], 0x8
	s_mul_i32 s4, s24, s37
	s_mul_hi_u32 s5, s24, s36
	s_add_i32 s5, s5, s4
	s_mul_i32 s4, s24, s36
	s_sub_u32 s33, s6, s4
	s_subb_u32 s4, 0, s5
	s_mul_i32 s4, s4, 5
	s_mul_hi_u32 s52, s33, 5
	s_add_i32 s52, s52, s4
	s_mul_i32 s33, s33, 5
	s_waitcnt lgkmcnt(0)
	s_mul_i32 s4, s22, s52
	s_mul_hi_u32 s5, s22, s33
	s_add_i32 s4, s5, s4
	s_mul_i32 s5, s23, s33
	s_add_i32 s35, s4, s5
	s_mul_i32 s4, s10, s52
	s_mul_hi_u32 s5, s10, s33
	v_cmp_lt_u64_e64 s[38:39], s[18:19], 3
	s_add_i32 s4, s5, s4
	s_mul_i32 s5, s11, s33
	s_mul_i32 s34, s22, s33
	s_add_i32 s5, s4, s5
	s_mul_i32 s4, s10, s33
	s_and_b64 vcc, exec, s[38:39]
	s_cbranch_vccnz .LBB0_12
; %bb.3:
	s_add_u32 s38, s30, 16
	s_addc_u32 s39, s31, 0
	s_add_u32 s40, s2, 16
	s_addc_u32 s41, s3, 0
	s_add_u32 s42, s0, 16
	v_mov_b32_e32 v1, s18
	s_addc_u32 s43, s1, 0
	s_mov_b64 s[44:45], 2
	s_mov_b32 s46, 0
	v_mov_b32_e32 v2, s19
.LBB0_4:                                ; =>This Inner Loop Header: Depth=1
	s_load_dwordx2 s[48:49], s[42:43], 0x0
	s_waitcnt lgkmcnt(0)
	s_or_b64 s[0:1], s[24:25], s[48:49]
	s_mov_b32 s47, s1
	s_cmp_lg_u64 s[46:47], 0
	s_cbranch_scc0 .LBB0_9
; %bb.5:                                ;   in Loop: Header=BB0_4 Depth=1
	v_cvt_f32_u32_e32 v3, s48
	v_cvt_f32_u32_e32 v4, s49
	s_sub_u32 s0, 0, s48
	s_subb_u32 s1, 0, s49
	v_mac_f32_e32 v3, 0x4f800000, v4
	v_rcp_f32_e32 v3, v3
	v_mul_f32_e32 v3, 0x5f7ffffc, v3
	v_mul_f32_e32 v4, 0x2f800000, v3
	v_trunc_f32_e32 v4, v4
	v_mac_f32_e32 v3, 0xcf800000, v4
	v_cvt_u32_f32_e32 v4, v4
	v_cvt_u32_f32_e32 v3, v3
	v_readfirstlane_b32 s47, v4
	v_readfirstlane_b32 s50, v3
	s_mul_i32 s51, s0, s47
	s_mul_hi_u32 s54, s0, s50
	s_mul_i32 s53, s1, s50
	s_add_i32 s51, s54, s51
	s_mul_i32 s55, s0, s50
	s_add_i32 s51, s51, s53
	s_mul_hi_u32 s53, s50, s51
	s_mul_i32 s54, s50, s51
	s_mul_hi_u32 s50, s50, s55
	s_add_u32 s50, s50, s54
	s_addc_u32 s53, 0, s53
	s_mul_hi_u32 s56, s47, s55
	s_mul_i32 s55, s47, s55
	s_add_u32 s50, s50, s55
	s_mul_hi_u32 s54, s47, s51
	s_addc_u32 s50, s53, s56
	s_addc_u32 s53, s54, 0
	s_mul_i32 s51, s47, s51
	s_add_u32 s50, s50, s51
	s_addc_u32 s51, 0, s53
	v_add_co_u32_e32 v3, vcc, s50, v3
	s_cmp_lg_u64 vcc, 0
	s_addc_u32 s47, s47, s51
	v_readfirstlane_b32 s51, v3
	s_mul_i32 s50, s0, s47
	s_mul_hi_u32 s53, s0, s51
	s_add_i32 s50, s53, s50
	s_mul_i32 s1, s1, s51
	s_add_i32 s50, s50, s1
	s_mul_i32 s0, s0, s51
	s_mul_hi_u32 s53, s47, s0
	s_mul_i32 s54, s47, s0
	s_mul_i32 s56, s51, s50
	s_mul_hi_u32 s0, s51, s0
	s_mul_hi_u32 s55, s51, s50
	s_add_u32 s0, s0, s56
	s_addc_u32 s51, 0, s55
	s_add_u32 s0, s0, s54
	s_mul_hi_u32 s1, s47, s50
	s_addc_u32 s0, s51, s53
	s_addc_u32 s1, s1, 0
	s_mul_i32 s50, s47, s50
	s_add_u32 s0, s0, s50
	s_addc_u32 s1, 0, s1
	v_add_co_u32_e32 v3, vcc, s0, v3
	s_cmp_lg_u64 vcc, 0
	s_addc_u32 s0, s47, s1
	v_readfirstlane_b32 s50, v3
	s_mul_i32 s47, s24, s0
	s_mul_hi_u32 s51, s24, s50
	s_mul_hi_u32 s1, s24, s0
	s_add_u32 s47, s51, s47
	s_addc_u32 s1, 0, s1
	s_mul_hi_u32 s53, s25, s50
	s_mul_i32 s50, s25, s50
	s_add_u32 s47, s47, s50
	s_mul_hi_u32 s51, s25, s0
	s_addc_u32 s1, s1, s53
	s_addc_u32 s47, s51, 0
	s_mul_i32 s0, s25, s0
	s_add_u32 s50, s1, s0
	s_addc_u32 s47, 0, s47
	s_mul_i32 s0, s48, s47
	s_mul_hi_u32 s1, s48, s50
	s_add_i32 s0, s1, s0
	s_mul_i32 s1, s49, s50
	s_add_i32 s51, s0, s1
	s_mul_i32 s1, s48, s50
	v_mov_b32_e32 v3, s1
	s_sub_i32 s0, s25, s51
	v_sub_co_u32_e32 v3, vcc, s24, v3
	s_cmp_lg_u64 vcc, 0
	s_subb_u32 s53, s0, s49
	v_subrev_co_u32_e64 v4, s[0:1], s48, v3
	s_cmp_lg_u64 s[0:1], 0
	s_subb_u32 s0, s53, 0
	s_cmp_ge_u32 s0, s49
	v_readfirstlane_b32 s53, v4
	s_cselect_b32 s1, -1, 0
	s_cmp_ge_u32 s53, s48
	s_cselect_b32 s53, -1, 0
	s_cmp_eq_u32 s0, s49
	s_cselect_b32 s0, s53, s1
	s_add_u32 s1, s50, 1
	s_addc_u32 s53, s47, 0
	s_add_u32 s54, s50, 2
	s_addc_u32 s55, s47, 0
	s_cmp_lg_u32 s0, 0
	s_cselect_b32 s0, s54, s1
	s_cselect_b32 s1, s55, s53
	s_cmp_lg_u64 vcc, 0
	s_subb_u32 s51, s25, s51
	s_cmp_ge_u32 s51, s49
	v_readfirstlane_b32 s54, v3
	s_cselect_b32 s53, -1, 0
	s_cmp_ge_u32 s54, s48
	s_cselect_b32 s54, -1, 0
	s_cmp_eq_u32 s51, s49
	s_cselect_b32 s51, s54, s53
	s_cmp_lg_u32 s51, 0
	s_cselect_b32 s1, s1, s47
	s_cselect_b32 s0, s0, s50
	s_cbranch_execnz .LBB0_7
.LBB0_6:                                ;   in Loop: Header=BB0_4 Depth=1
	v_cvt_f32_u32_e32 v3, s48
	s_sub_i32 s0, 0, s48
	v_rcp_iflag_f32_e32 v3, v3
	v_mul_f32_e32 v3, 0x4f7ffffe, v3
	v_cvt_u32_f32_e32 v3, v3
	v_readfirstlane_b32 s1, v3
	s_mul_i32 s0, s0, s1
	s_mul_hi_u32 s0, s1, s0
	s_add_i32 s1, s1, s0
	s_mul_hi_u32 s0, s24, s1
	s_mul_i32 s47, s0, s48
	s_sub_i32 s47, s24, s47
	s_add_i32 s1, s0, 1
	s_sub_i32 s50, s47, s48
	s_cmp_ge_u32 s47, s48
	s_cselect_b32 s0, s1, s0
	s_cselect_b32 s47, s50, s47
	s_add_i32 s1, s0, 1
	s_cmp_ge_u32 s47, s48
	s_cselect_b32 s0, s1, s0
	s_mov_b32 s1, s46
.LBB0_7:                                ;   in Loop: Header=BB0_4 Depth=1
	s_mul_i32 s37, s48, s37
	s_mul_hi_u32 s47, s48, s36
	s_add_i32 s37, s47, s37
	s_mul_i32 s47, s49, s36
	s_add_i32 s37, s37, s47
	s_mul_i32 s47, s0, s49
	s_mul_hi_u32 s49, s0, s48
	s_load_dwordx2 s[50:51], s[40:41], 0x0
	s_add_i32 s47, s49, s47
	s_mul_i32 s49, s1, s48
	s_mul_i32 s36, s48, s36
	s_add_i32 s47, s47, s49
	s_mul_i32 s48, s0, s48
	s_sub_u32 s48, s24, s48
	s_subb_u32 s47, s25, s47
	s_waitcnt lgkmcnt(0)
	s_mul_i32 s24, s50, s47
	s_mul_hi_u32 s25, s50, s48
	s_add_i32 s49, s25, s24
	s_load_dwordx2 s[24:25], s[38:39], 0x0
	s_mul_i32 s51, s51, s48
	s_add_i32 s49, s49, s51
	s_mul_i32 s50, s50, s48
	s_add_u32 s34, s50, s34
	s_addc_u32 s35, s49, s35
	s_waitcnt lgkmcnt(0)
	s_mul_i32 s47, s24, s47
	s_mul_hi_u32 s49, s24, s48
	s_add_i32 s47, s49, s47
	s_mul_i32 s25, s25, s48
	s_add_i32 s47, s47, s25
	s_mul_i32 s24, s24, s48
	s_add_u32 s4, s24, s4
	s_addc_u32 s5, s47, s5
	s_add_u32 s44, s44, 1
	s_addc_u32 s45, s45, 0
	;; [unrolled: 2-line block ×4, first 2 shown]
	v_cmp_ge_u64_e32 vcc, s[44:45], v[1:2]
	s_add_u32 s42, s42, 8
	s_addc_u32 s43, s43, 0
	s_cbranch_vccnz .LBB0_10
; %bb.8:                                ;   in Loop: Header=BB0_4 Depth=1
	s_mov_b64 s[24:25], s[0:1]
	s_branch .LBB0_4
.LBB0_9:                                ;   in Loop: Header=BB0_4 Depth=1
                                        ; implicit-def: $sgpr0_sgpr1
	s_branch .LBB0_6
.LBB0_10:
	v_mov_b32_e32 v1, s36
	v_mov_b32_e32 v2, s37
	v_cmp_lt_u64_e32 vcc, s[6:7], v[1:2]
	s_mov_b64 s[24:25], 0
	s_cbranch_vccnz .LBB0_12
; %bb.11:
	v_cvt_f32_u32_e32 v1, s36
	s_sub_i32 s0, 0, s36
	v_rcp_iflag_f32_e32 v1, v1
	v_mul_f32_e32 v1, 0x4f7ffffe, v1
	v_cvt_u32_f32_e32 v1, v1
	v_readfirstlane_b32 s1, v1
	s_mul_i32 s0, s0, s1
	s_mul_hi_u32 s0, s1, s0
	s_add_i32 s1, s1, s0
	s_mul_hi_u32 s0, s6, s1
	s_mul_i32 s7, s0, s36
	s_sub_i32 s6, s6, s7
	s_add_i32 s1, s0, 1
	s_sub_i32 s7, s6, s36
	s_cmp_ge_u32 s6, s36
	s_cselect_b32 s0, s1, s0
	s_cselect_b32 s6, s7, s6
	s_add_i32 s1, s0, 1
	s_cmp_ge_u32 s6, s36
	s_cselect_b32 s24, s1, s0
.LBB0_12:
	s_lshl_b64 s[36:37], s[18:19], 3
	s_add_u32 s6, s30, s36
	s_addc_u32 s7, s31, s37
	s_add_u32 s0, s33, 5
	v_mov_b32_e32 v1, s28
	s_addc_u32 s1, s52, 0
	v_mov_b32_e32 v2, s29
	v_cmp_le_u64_e32 vcc, s[0:1], v[1:2]
	v_mul_u32_u24_e32 v1, 0x3334, v0
	v_lshrrev_b32_e32 v1, 16, v1
	v_mul_lo_u16_e32 v2, 5, v1
	v_sub_u16_e32 v3, v0, v2
	v_mov_b32_e32 v2, s52
	v_add_co_u32_e64 v4, s[0:1], s33, v3
	v_addc_co_u32_e64 v5, s[0:1], 0, v2, s[0:1]
	v_cmp_gt_u64_e64 s[0:1], s[28:29], v[4:5]
	v_lshlrev_b32_e32 v4, 3, v1
	s_or_b64 s[0:1], vcc, s[0:1]
	v_add_u32_e32 v2, 49, v1
	s_and_saveexec_b64 s[18:19], s[0:1]
	s_cbranch_execz .LBB0_14
; %bb.13:
	s_add_u32 s2, s2, s36
	s_addc_u32 s3, s3, s37
	s_load_dwordx2 s[2:3], s[2:3], 0x0
	v_mad_u64_u32 v[5:6], s[28:29], s22, v3, 0
	v_mad_u64_u32 v[7:8], s[28:29], s20, v1, 0
	s_waitcnt lgkmcnt(0)
	s_mul_i32 s3, s3, s24
	s_mul_hi_u32 s25, s2, s24
	s_add_i32 s3, s25, s3
	s_mul_i32 s2, s2, s24
	v_mad_u64_u32 v[9:10], s[22:23], s23, v3, v[6:7]
	v_mov_b32_e32 v6, v8
	s_lshl_b64 s[2:3], s[2:3], 3
	v_mad_u64_u32 v[10:11], s[22:23], s21, v1, v[6:7]
	s_add_u32 s12, s12, s2
	s_addc_u32 s13, s13, s3
	s_lshl_b64 s[2:3], s[34:35], 3
	s_add_u32 s12, s12, s2
	s_addc_u32 s2, s13, s3
	v_mov_b32_e32 v6, v9
	v_mov_b32_e32 v8, v10
	;; [unrolled: 1-line block ×3, first 2 shown]
	v_mad_u64_u32 v[9:10], s[2:3], s20, v2, 0
	v_lshlrev_b64 v[5:6], 3, v[5:6]
	v_add_u32_e32 v13, 0x62, v1
	v_add_co_u32_e32 v31, vcc, s12, v5
	v_addc_co_u32_e32 v32, vcc, v11, v6, vcc
	v_lshlrev_b64 v[5:6], 3, v[7:8]
	v_mov_b32_e32 v7, v10
	v_mad_u64_u32 v[7:8], s[2:3], s21, v2, v[7:8]
	v_mad_u64_u32 v[11:12], s[2:3], s20, v13, 0
	v_mov_b32_e32 v10, v7
	v_lshlrev_b64 v[7:8], 3, v[9:10]
	v_mov_b32_e32 v9, v12
	v_mad_u64_u32 v[9:10], s[2:3], s21, v13, v[9:10]
	v_add_u32_e32 v15, 0x93, v1
	v_mad_u64_u32 v[13:14], s[2:3], s20, v15, 0
	v_mov_b32_e32 v12, v9
	v_lshlrev_b64 v[9:10], 3, v[11:12]
	v_mov_b32_e32 v11, v14
	v_mad_u64_u32 v[11:12], s[2:3], s21, v15, v[11:12]
	v_add_u32_e32 v17, 0xc4, v1
	;; [unrolled: 6-line block ×4, first 2 shown]
	v_add_co_u32_e32 v5, vcc, v31, v5
	v_mad_u64_u32 v[19:20], s[2:3], s20, v21, 0
	v_addc_co_u32_e32 v6, vcc, v32, v6, vcc
	v_add_co_u32_e32 v7, vcc, v31, v7
	v_addc_co_u32_e32 v8, vcc, v32, v8, vcc
	v_mov_b32_e32 v18, v15
	v_add_co_u32_e32 v9, vcc, v31, v9
	v_lshlrev_b64 v[15:16], 3, v[17:18]
	v_mov_b32_e32 v17, v20
	v_addc_co_u32_e32 v10, vcc, v32, v10, vcc
	v_mad_u64_u32 v[17:18], s[2:3], s21, v21, v[17:18]
	v_add_co_u32_e32 v11, vcc, v31, v11
	v_addc_co_u32_e32 v12, vcc, v32, v12, vcc
	v_add_co_u32_e32 v13, vcc, v31, v13
	v_addc_co_u32_e32 v14, vcc, v32, v14, vcc
	v_mov_b32_e32 v20, v17
	v_add_co_u32_e32 v15, vcc, v31, v15
	v_lshlrev_b64 v[17:18], 3, v[19:20]
	v_addc_co_u32_e32 v16, vcc, v32, v16, vcc
	global_load_dwordx2 v[19:20], v[5:6], off
	global_load_dwordx2 v[21:22], v[7:8], off
	;; [unrolled: 1-line block ×6, first 2 shown]
	v_add_co_u32_e32 v5, vcc, v31, v17
	v_addc_co_u32_e32 v6, vcc, v32, v18, vcc
	global_load_dwordx2 v[5:6], v[5:6], off
	v_mul_u32_u24_e32 v7, 0xab8, v3
	v_add3_u32 v7, 0, v7, v4
	s_waitcnt vmcnt(5)
	ds_write2_b64 v7, v[19:20], v[21:22] offset1:49
	s_waitcnt vmcnt(3)
	ds_write2_b64 v7, v[23:24], v[25:26] offset0:98 offset1:147
	s_waitcnt vmcnt(1)
	ds_write2_b64 v7, v[27:28], v[29:30] offset0:196 offset1:245
	s_waitcnt vmcnt(0)
	ds_write_b64 v7, v[5:6] offset:2352
.LBB0_14:
	s_or_b64 exec, exec, s[18:19]
	s_movk_i32 s2, 0x53a
	v_mul_u32_u24_sdwa v5, v0, s2 dst_sel:DWORD dst_unused:UNUSED_PAD src0_sel:WORD_0 src1_sel:DWORD
	s_add_u32 s2, 0, 0x3330c000
	s_addc_u32 s3, 0, 0xb3
	s_add_i32 s3, s3, 0x33333280
	s_mul_hi_u32 s19, s2, -5
	s_sub_i32 s19, s19, s2
	s_mul_i32 s20, s3, -5
	s_mul_i32 s12, s2, -5
	s_add_i32 s19, s19, s20
	s_mul_hi_u32 s13, s3, s12
	s_mul_i32 s18, s3, s12
	s_mul_i32 s21, s2, s19
	s_mul_hi_u32 s12, s2, s12
	s_mul_hi_u32 s20, s2, s19
	s_add_u32 s12, s12, s21
	s_addc_u32 s20, 0, s20
	s_add_u32 s12, s12, s18
	s_mul_hi_u32 s21, s3, s19
	s_addc_u32 s12, s20, s13
	s_addc_u32 s13, s21, 0
	s_mul_i32 s18, s3, s19
	s_add_u32 s12, s12, s18
	v_lshrrev_b32_e32 v10, 16, v5
	v_mov_b32_e32 v5, s12
	s_addc_u32 s13, 0, s13
	v_add_co_u32_e32 v8, vcc, s2, v5
	s_cmp_lg_u64 vcc, 0
	v_mov_b32_e32 v6, s52
	s_addc_u32 s12, s3, s13
	v_add_co_u32_e32 v5, vcc, s33, v10
	v_addc_co_u32_e32 v11, vcc, 0, v6, vcc
	v_mad_u64_u32 v[6:7], s[2:3], v5, s12, 0
	v_mul_hi_u32 v9, v5, v8
	s_mov_b32 s13, 0xbeae86e6
	s_movk_i32 s18, 0x188
	v_add_co_u32_e32 v12, vcc, v9, v6
	v_addc_co_u32_e32 v13, vcc, 0, v7, vcc
	v_mad_u64_u32 v[6:7], s[2:3], v11, v8, 0
	v_mad_u64_u32 v[8:9], s[2:3], v11, s12, 0
	v_add_co_u32_e32 v6, vcc, v12, v6
	v_addc_co_u32_e32 v6, vcc, v13, v7, vcc
	v_addc_co_u32_e32 v7, vcc, 0, v9, vcc
	v_add_co_u32_e32 v6, vcc, v6, v8
	v_addc_co_u32_e32 v8, vcc, 0, v7, vcc
	v_mad_u64_u32 v[6:7], s[2:3], v6, 5, 0
	s_load_dwordx2 s[2:3], s[6:7], 0x0
	s_waitcnt lgkmcnt(0)
	v_mad_u64_u32 v[7:8], s[6:7], v8, 5, v[7:8]
	v_sub_co_u32_e32 v6, vcc, v5, v6
	v_subb_co_u32_e32 v7, vcc, v11, v7, vcc
	v_subrev_co_u32_e32 v8, vcc, 5, v6
	v_subbrev_co_u32_e32 v9, vcc, 0, v7, vcc
	v_cmp_lt_u32_e32 vcc, 4, v8
	v_cndmask_b32_e64 v11, 0, -1, vcc
	v_cmp_eq_u32_e32 vcc, 0, v9
	v_cndmask_b32_e32 v9, -1, v11, vcc
	v_add_u32_e32 v11, -5, v8
	v_cmp_ne_u32_e32 vcc, 0, v9
	v_cndmask_b32_e32 v8, v8, v11, vcc
	v_cmp_lt_u32_e32 vcc, 4, v6
	v_cndmask_b32_e64 v9, 0, -1, vcc
	v_cmp_eq_u32_e32 vcc, 0, v7
	v_cndmask_b32_e32 v7, -1, v9, vcc
	v_cmp_ne_u32_e32 vcc, 0, v7
	v_cndmask_b32_e32 v6, v6, v8, vcc
	v_mul_lo_u16_e32 v7, 49, v10
	v_mul_u32_u24_e32 v6, 0x157, v6
	v_sub_u16_e32 v7, v0, v7
	v_lshlrev_b32_e32 v29, 3, v6
	v_lshlrev_b32_e32 v6, 3, v7
	v_add3_u32 v0, 0, v6, v29
	v_add_u32_e32 v8, 0x400, v0
	s_barrier
	ds_read2_b64 v[9:12], v0 offset0:49 offset1:98
	ds_read2_b64 v[13:16], v8 offset0:117 offset1:166
	v_add3_u32 v6, 0, v29, v6
	s_mov_b32 s6, 0x3f5ff5aa
	s_mov_b32 s7, 0xbf3bfb3b
	v_mad_u32_u24 v34, v7, 48, v0
	s_waitcnt lgkmcnt(0)
	v_add_f32_e32 v19, v9, v15
	v_add_f32_e32 v20, v10, v16
	v_sub_f32_e32 v21, v9, v15
	v_sub_f32_e32 v22, v10, v16
	ds_read2_b64 v[15:18], v0 offset0:147 offset1:196
	ds_read_b64 v[9:10], v6
	v_add_f32_e32 v23, v11, v13
	v_add_f32_e32 v24, v12, v14
	v_sub_f32_e32 v11, v11, v13
	s_waitcnt lgkmcnt(1)
	v_add_f32_e32 v13, v15, v17
	v_sub_f32_e32 v15, v17, v15
	v_add_f32_e32 v17, v23, v19
	v_sub_f32_e32 v12, v12, v14
	;; [unrolled: 2-line block ×3, first 2 shown]
	v_add_f32_e32 v18, v24, v20
	v_add_f32_e32 v17, v13, v17
	;; [unrolled: 1-line block ×3, first 2 shown]
	s_waitcnt lgkmcnt(0)
	v_add_f32_e32 v9, v9, v17
	v_add_f32_e32 v10, v10, v18
	v_sub_f32_e32 v25, v23, v19
	v_sub_f32_e32 v19, v19, v13
	;; [unrolled: 1-line block ×6, first 2 shown]
	v_add_f32_e32 v24, v15, v11
	v_mov_b32_e32 v30, v9
	v_sub_f32_e32 v26, v15, v11
	v_sub_f32_e32 v15, v21, v15
	;; [unrolled: 1-line block ×3, first 2 shown]
	v_add_f32_e32 v21, v24, v21
	v_add_f32_e32 v11, v16, v12
	v_sub_f32_e32 v24, v16, v12
	v_fmac_f32_e32 v30, 0xbf955555, v17
	v_mov_b32_e32 v17, v10
	v_sub_f32_e32 v16, v22, v16
	v_sub_f32_e32 v28, v12, v22
	v_add_f32_e32 v22, v11, v22
	v_fmac_f32_e32 v17, 0xbf955555, v18
	v_mul_f32_e32 v11, 0x3f4a47b2, v19
	v_mul_f32_e32 v12, 0x3f4a47b2, v20
	;; [unrolled: 1-line block ×4, first 2 shown]
	v_fma_f32 v20, v25, s7, -v11
	v_fmac_f32_e32 v11, 0x3d64c772, v13
	v_fma_f32 v24, v23, s7, -v12
	v_fmac_f32_e32 v12, 0x3d64c772, v14
	v_fma_f32 v26, v27, s6, -v18
	v_fmac_f32_e32 v18, 0x3eae86e6, v15
	v_fma_f32 v31, v28, s6, -v19
	v_fmac_f32_e32 v19, 0x3eae86e6, v16
	v_add_f32_e32 v32, v11, v30
	v_add_f32_e32 v33, v12, v17
	v_fmac_f32_e32 v18, 0x3ee1c552, v21
	v_fmac_f32_e32 v19, 0x3ee1c552, v22
	v_add_f32_e32 v11, v32, v19
	v_sub_f32_e32 v12, v33, v18
	s_barrier
	ds_write2_b64 v34, v[9:10], v[11:12] offset1:1
	v_mul_f32_e32 v9, 0x3d64c772, v13
	s_mov_b32 s12, 0x3f3bfb3b
	v_mul_f32_e32 v10, 0x3d64c772, v14
	v_mul_f32_e32 v13, 0x3f5ff5aa, v27
	v_fma_f32 v10, v23, s12, -v10
	v_fma_f32 v23, v15, s13, -v13
	v_mul_f32_e32 v13, 0x3f5ff5aa, v28
	v_fma_f32 v9, v25, s12, -v9
	v_fma_f32 v15, v16, s13, -v13
	v_add_f32_e32 v11, v9, v30
	v_add_f32_e32 v12, v10, v17
	v_fmac_f32_e32 v26, 0x3ee1c552, v21
	v_fmac_f32_e32 v31, 0x3ee1c552, v22
	v_add_f32_e32 v16, v20, v30
	v_add_f32_e32 v17, v24, v17
	v_fmac_f32_e32 v23, 0x3ee1c552, v21
	v_fmac_f32_e32 v15, 0x3ee1c552, v22
	v_sub_f32_e32 v9, v11, v31
	v_add_f32_e32 v10, v26, v12
	v_add_f32_e32 v13, v15, v16
	v_sub_f32_e32 v14, v17, v23
	v_add_f32_e32 v11, v31, v11
	v_sub_f32_e32 v12, v12, v26
	v_sub_f32_e32 v15, v16, v15
	v_add_f32_e32 v16, v23, v17
	v_sub_f32_e32 v17, v32, v19
	v_add_f32_e32 v18, v18, v33
	ds_write2_b64 v34, v[13:14], v[9:10] offset0:2 offset1:3
	ds_write2_b64 v34, v[11:12], v[15:16] offset0:4 offset1:5
	ds_write_b64 v34, v[17:18] offset:48
	v_mov_b32_e32 v9, 37
	v_mul_lo_u16_sdwa v9, v7, v9 dst_sel:DWORD dst_unused:UNUSED_PAD src0_sel:BYTE_0 src1_sel:DWORD
	v_sub_u16_sdwa v10, v7, v9 dst_sel:DWORD dst_unused:UNUSED_PAD src0_sel:DWORD src1_sel:BYTE_1
	v_lshrrev_b16_e32 v10, 1, v10
	v_and_b32_e32 v10, 0x7f, v10
	v_add_u16_sdwa v9, v10, v9 dst_sel:DWORD dst_unused:UNUSED_PAD src0_sel:DWORD src1_sel:BYTE_1
	v_lshrrev_b16_e32 v30, 2, v9
	v_mul_lo_u16_e32 v9, 7, v30
	v_sub_u16_e32 v31, v7, v9
	v_mov_b32_e32 v9, 6
	v_mul_u32_u24_sdwa v9, v31, v9 dst_sel:DWORD dst_unused:UNUSED_PAD src0_sel:BYTE_0 src1_sel:DWORD
	v_lshlrev_b32_e32 v21, 3, v9
	s_waitcnt lgkmcnt(0)
	s_barrier
	global_load_dwordx4 v[9:12], v21, s[26:27]
	global_load_dwordx4 v[13:16], v21, s[26:27] offset:16
	global_load_dwordx4 v[17:20], v21, s[26:27] offset:32
	ds_read2_b64 v[21:24], v0 offset0:49 offset1:98
	v_mul_lo_u32 v38, v5, v7
	s_waitcnt vmcnt(2) lgkmcnt(0)
	v_mul_f32_e32 v25, v10, v22
	v_fma_f32 v32, v9, v21, -v25
	ds_read2_b64 v[25:28], v0 offset0:147 offset1:196
	v_mul_f32_e32 v21, v10, v21
	v_fmac_f32_e32 v21, v9, v22
	v_mul_f32_e32 v9, v12, v24
	v_fma_f32 v22, v11, v23, -v9
	v_mul_f32_e32 v23, v12, v23
	s_waitcnt vmcnt(1) lgkmcnt(0)
	v_mul_f32_e32 v9, v14, v26
	v_fmac_f32_e32 v23, v11, v24
	v_fma_f32 v24, v13, v25, -v9
	ds_read2_b64 v[9:12], v8 offset0:117 offset1:166
	v_mul_f32_e32 v14, v14, v25
	v_fmac_f32_e32 v14, v13, v26
	v_mul_f32_e32 v13, v16, v28
	v_mul_f32_e32 v16, v16, v27
	v_fma_f32 v13, v15, v27, -v13
	v_fmac_f32_e32 v16, v15, v28
	s_waitcnt vmcnt(0) lgkmcnt(0)
	v_mul_f32_e32 v15, v18, v10
	v_fma_f32 v15, v17, v9, -v15
	v_mul_f32_e32 v18, v18, v9
	v_mul_f32_e32 v9, v20, v12
	v_fmac_f32_e32 v18, v17, v10
	v_fma_f32 v17, v19, v11, -v9
	v_mul_f32_e32 v20, v20, v11
	v_fmac_f32_e32 v20, v19, v12
	v_add_f32_e32 v19, v32, v17
	v_add_f32_e32 v25, v22, v15
	;; [unrolled: 1-line block ×5, first 2 shown]
	ds_read_b64 v[9:10], v6
	v_add_f32_e32 v28, v21, v20
	v_add_f32_e32 v33, v23, v18
	;; [unrolled: 1-line block ×5, first 2 shown]
	s_waitcnt lgkmcnt(0)
	v_add_f32_e32 v11, v27, v9
	v_mov_b32_e32 v9, 3
	v_add_f32_e32 v12, v35, v10
	v_mad_u32_u24 v10, v30, s18, 0
	v_lshlrev_b32_sdwa v30, v9, v31 dst_sel:DWORD dst_unused:UNUSED_PAD src0_sel:DWORD src1_sel:BYTE_0
	v_sub_f32_e32 v15, v22, v15
	v_sub_f32_e32 v13, v13, v24
	v_add3_u32 v29, v10, v30, v29
	v_sub_f32_e32 v10, v32, v17
	v_sub_f32_e32 v18, v23, v18
	;; [unrolled: 1-line block ×3, first 2 shown]
	v_add_f32_e32 v24, v13, v15
	v_sub_f32_e32 v17, v21, v20
	v_sub_f32_e32 v16, v25, v19
	;; [unrolled: 1-line block ×8, first 2 shown]
	v_add_f32_e32 v24, v24, v10
	v_add_f32_e32 v10, v14, v18
	v_sub_f32_e32 v13, v14, v18
	v_mov_b32_e32 v30, v11
	v_sub_f32_e32 v21, v33, v28
	v_sub_f32_e32 v23, v34, v33
	;; [unrolled: 1-line block ×4, first 2 shown]
	v_add_f32_e32 v17, v10, v17
	v_fmac_f32_e32 v30, 0xbf955555, v27
	v_mov_b32_e32 v27, v12
	v_mul_f32_e32 v10, 0x3f4a47b2, v19
	v_mul_f32_e32 v14, 0x3f4a47b2, v22
	;; [unrolled: 1-line block ×4, first 2 shown]
	v_fmac_f32_e32 v27, 0xbf955555, v35
	v_fma_f32 v25, v16, s7, -v10
	v_fmac_f32_e32 v10, 0x3d64c772, v20
	v_fma_f32 v31, v21, s7, -v14
	;; [unrolled: 2-line block ×4, first 2 shown]
	v_fmac_f32_e32 v22, 0x3eae86e6, v28
	v_add_f32_e32 v34, v10, v30
	v_add_f32_e32 v35, v14, v27
	v_fmac_f32_e32 v19, 0x3ee1c552, v24
	v_fmac_f32_e32 v22, 0x3ee1c552, v17
	v_add_f32_e32 v13, v22, v34
	v_sub_f32_e32 v14, v35, v19
	s_barrier
	ds_write2_b64 v29, v[11:12], v[13:14] offset1:7
	v_mul_f32_e32 v14, 0x3f5ff5aa, v15
	v_mul_f32_e32 v10, 0x3d64c772, v20
	v_mul_f32_e32 v11, 0x3d64c772, v23
	v_fma_f32 v20, v26, s13, -v14
	v_mul_f32_e32 v14, 0x3f5ff5aa, v18
	v_fma_f32 v10, v16, s12, -v10
	v_fma_f32 v11, v21, s12, -v11
	;; [unrolled: 1-line block ×3, first 2 shown]
	v_add_f32_e32 v12, v10, v30
	v_add_f32_e32 v13, v11, v27
	v_fmac_f32_e32 v32, 0x3ee1c552, v24
	v_fmac_f32_e32 v33, 0x3ee1c552, v17
	v_add_f32_e32 v18, v25, v30
	v_add_f32_e32 v21, v31, v27
	v_fmac_f32_e32 v20, 0x3ee1c552, v24
	v_fmac_f32_e32 v16, 0x3ee1c552, v17
	v_sub_f32_e32 v10, v12, v33
	v_add_f32_e32 v11, v32, v13
	v_add_f32_e32 v14, v16, v18
	v_sub_f32_e32 v15, v21, v20
	v_add_f32_e32 v12, v33, v12
	v_sub_f32_e32 v13, v13, v32
	v_sub_f32_e32 v16, v18, v16
	v_add_f32_e32 v17, v20, v21
	v_sub_f32_e32 v18, v34, v22
	v_add_f32_e32 v19, v19, v35
	ds_write2_b64 v29, v[14:15], v[10:11] offset0:14 offset1:21
	ds_write2_b64 v29, v[12:13], v[16:17] offset0:28 offset1:35
	ds_write_b64 v29, v[18:19] offset:336
	v_mul_u32_u24_e32 v10, 6, v7
	v_lshlrev_b32_e32 v22, 3, v10
	s_waitcnt lgkmcnt(0)
	s_barrier
	global_load_dwordx4 v[10:13], v22, s[26:27] offset:336
	global_load_dwordx4 v[14:17], v22, s[26:27] offset:352
	;; [unrolled: 1-line block ×3, first 2 shown]
	v_lshlrev_b32_sdwa v22, v9, v38 dst_sel:DWORD dst_unused:UNUSED_PAD src0_sel:DWORD src1_sel:BYTE_0
	v_lshlrev_b32_sdwa v23, v9, v38 dst_sel:DWORD dst_unused:UNUSED_PAD src0_sel:DWORD src1_sel:BYTE_1
	global_load_dwordx2 v[30:31], v22, s[16:17]
	global_load_dwordx2 v[32:33], v23, s[16:17] offset:2048
	v_add_u32_e32 v22, 49, v7
	v_mul_lo_u32 v39, v5, v22
	v_lshlrev_b32_sdwa v23, v9, v39 dst_sel:DWORD dst_unused:UNUSED_PAD src0_sel:DWORD src1_sel:BYTE_1
	v_lshlrev_b32_sdwa v22, v9, v39 dst_sel:DWORD dst_unused:UNUSED_PAD src0_sel:DWORD src1_sel:BYTE_0
	global_load_dwordx2 v[34:35], v23, s[16:17] offset:2048
	global_load_dwordx2 v[36:37], v22, s[16:17]
	ds_read2_b64 v[22:25], v0 offset0:49 offset1:98
	s_waitcnt vmcnt(6) lgkmcnt(0)
	v_mul_f32_e32 v26, v11, v23
	v_fma_f32 v40, v10, v22, -v26
	ds_read2_b64 v[26:29], v0 offset0:147 offset1:196
	v_mul_f32_e32 v41, v11, v22
	v_fmac_f32_e32 v41, v10, v23
	v_mul_f32_e32 v10, v13, v25
	v_fma_f32 v42, v12, v24, -v10
	v_mul_f32_e32 v43, v13, v24
	s_waitcnt vmcnt(5) lgkmcnt(0)
	v_mul_f32_e32 v10, v15, v27
	v_fmac_f32_e32 v43, v12, v25
	v_fma_f32 v44, v14, v26, -v10
	ds_read2_b64 v[10:13], v8 offset0:117 offset1:166
	v_mul_f32_e32 v26, v15, v26
	v_mul_f32_e32 v8, v17, v29
	v_fmac_f32_e32 v26, v14, v27
	v_fma_f32 v27, v16, v28, -v8
	v_mul_f32_e32 v28, v17, v28
	s_waitcnt vmcnt(4) lgkmcnt(0)
	v_mul_f32_e32 v8, v19, v11
	v_fmac_f32_e32 v28, v16, v29
	v_fma_f32 v29, v18, v10, -v8
	v_mul_f32_e32 v8, v21, v13
	v_fma_f32 v46, v20, v12, -v8
	v_add_u32_e32 v8, 0x62, v7
	v_mul_lo_u32 v8, v5, v8
	v_mul_f32_e32 v47, v21, v12
	s_waitcnt vmcnt(2)
	v_mul_f32_e32 v12, v31, v33
	v_fma_f32 v48, v30, v32, -v12
	v_add_u32_e32 v12, 0x93, v7
	v_mul_f32_e32 v45, v19, v10
	v_bfe_u32 v10, v38, 16, 8
	v_mov_b32_e32 v38, 0x1000
	v_mul_lo_u32 v49, v5, v12
	v_lshl_or_b32 v10, v10, 3, v38
	v_lshlrev_b32_sdwa v16, v9, v8 dst_sel:DWORD dst_unused:UNUSED_PAD src0_sel:DWORD src1_sel:BYTE_0
	v_fmac_f32_e32 v45, v18, v11
	v_fmac_f32_e32 v47, v20, v13
	global_load_dwordx2 v[10:11], v10, s[16:17]
	v_lshlrev_b32_sdwa v17, v9, v8 dst_sel:DWORD dst_unused:UNUSED_PAD src0_sel:DWORD src1_sel:BYTE_1
	global_load_dwordx2 v[12:13], v16, s[16:17]
	global_load_dwordx2 v[14:15], v17, s[16:17] offset:2048
	v_mul_f32_e32 v30, v30, v33
	v_lshlrev_b32_sdwa v20, v9, v49 dst_sel:DWORD dst_unused:UNUSED_PAD src0_sel:DWORD src1_sel:BYTE_0
	v_add_u32_e32 v23, 0xc4, v7
	v_fmac_f32_e32 v30, v31, v32
	v_lshlrev_b32_sdwa v21, v9, v49 dst_sel:DWORD dst_unused:UNUSED_PAD src0_sel:DWORD src1_sel:BYTE_1
	global_load_dwordx2 v[16:17], v20, s[16:17]
	global_load_dwordx2 v[18:19], v21, s[16:17] offset:2048
	v_mul_lo_u32 v31, v5, v23
	v_bfe_u32 v20, v39, 16, 8
	s_waitcnt vmcnt(5)
	v_mul_f32_e32 v22, v37, v35
	v_mul_f32_e32 v33, v36, v35
	v_lshl_or_b32 v20, v20, 3, v38
	v_fma_f32 v32, v36, v34, -v22
	v_fmac_f32_e32 v33, v37, v34
	v_lshlrev_b32_sdwa v34, v9, v31 dst_sel:DWORD dst_unused:UNUSED_PAD src0_sel:DWORD src1_sel:BYTE_0
	global_load_dwordx2 v[20:21], v20, s[16:17]
	v_lshlrev_b32_sdwa v35, v9, v31 dst_sel:DWORD dst_unused:UNUSED_PAD src0_sel:DWORD src1_sel:BYTE_1
	global_load_dwordx2 v[22:23], v34, s[16:17]
	global_load_dwordx2 v[24:25], v35, s[16:17] offset:2048
	v_bfe_u32 v8, v8, 16, 8
	v_lshl_or_b32 v8, v8, 3, v38
	s_waitcnt vmcnt(5)
	v_mul_f32_e32 v34, v13, v15
	v_fma_f32 v34, v12, v14, -v34
	v_mul_f32_e32 v35, v12, v15
	v_bfe_u32 v12, v49, 16, 8
	v_lshl_or_b32 v36, v12, 3, v38
	v_fmac_f32_e32 v35, v13, v14
	global_load_dwordx2 v[12:13], v36, s[16:17]
	global_load_dwordx2 v[14:15], v8, s[16:17]
	s_waitcnt vmcnt(5)
	v_mul_f32_e32 v8, v17, v19
	v_fma_f32 v36, v16, v18, -v8
	v_add_u32_e32 v8, 0xf5, v7
	v_mul_lo_u32 v39, v5, v8
	v_bfe_u32 v8, v31, 16, 8
	v_mul_f32_e32 v37, v16, v19
	v_lshl_or_b32 v8, v8, 3, v38
	v_fmac_f32_e32 v37, v17, v18
	global_load_dwordx2 v[16:17], v8, s[16:17]
	v_add_u32_e32 v7, 0x126, v7
	s_waitcnt vmcnt(3)
	v_mul_f32_e32 v8, v23, v25
	v_fma_f32 v31, v22, v24, -v8
	v_lshlrev_b32_sdwa v8, v9, v39 dst_sel:DWORD dst_unused:UNUSED_PAD src0_sel:DWORD src1_sel:BYTE_0
	v_mul_f32_e32 v49, v22, v25
	global_load_dwordx2 v[18:19], v8, s[16:17]
	v_lshlrev_b32_sdwa v8, v9, v39 dst_sel:DWORD dst_unused:UNUSED_PAD src0_sel:DWORD src1_sel:BYTE_1
	v_fmac_f32_e32 v49, v23, v24
	global_load_dwordx2 v[22:23], v8, s[16:17] offset:2048
	v_mul_lo_u32 v50, v5, v7
	v_lshlrev_b32_sdwa v5, v9, v50 dst_sel:DWORD dst_unused:UNUSED_PAD src0_sel:DWORD src1_sel:BYTE_1
	global_load_dwordx2 v[7:8], v5, s[16:17] offset:2048
	v_bfe_u32 v5, v39, 16, 8
	v_lshl_or_b32 v5, v5, 3, v38
	global_load_dwordx2 v[24:25], v5, s[16:17]
	v_lshlrev_b32_sdwa v9, v9, v50 dst_sel:DWORD dst_unused:UNUSED_PAD src0_sel:DWORD src1_sel:BYTE_0
	s_waitcnt vmcnt(2)
	v_mul_f32_e32 v5, v19, v23
	v_mul_f32_e32 v23, v18, v23
	v_fma_f32 v5, v18, v22, -v5
	v_fmac_f32_e32 v23, v19, v22
	global_load_dwordx2 v[18:19], v9, s[16:17]
	s_waitcnt vmcnt(0)
	v_mul_f32_e32 v9, v19, v8
	v_mul_f32_e32 v39, v18, v8
	v_fma_f32 v22, v18, v7, -v9
	v_fmac_f32_e32 v39, v19, v7
	v_mul_f32_e32 v7, v30, v11
	v_fma_f32 v9, v10, v48, -v7
	v_mul_f32_e32 v7, v33, v21
	v_mul_f32_e32 v11, v48, v11
	v_fma_f32 v18, v20, v32, -v7
	v_mul_f32_e32 v7, v35, v15
	v_fmac_f32_e32 v11, v10, v30
	v_mul_f32_e32 v10, v32, v21
	v_fma_f32 v19, v14, v34, -v7
	v_mul_f32_e32 v7, v37, v13
	v_fmac_f32_e32 v10, v20, v33
	v_fma_f32 v20, v12, v36, -v7
	v_mul_f32_e32 v7, v49, v17
	v_mul_f32_e32 v15, v34, v15
	v_fma_f32 v21, v16, v31, -v7
	v_mul_f32_e32 v17, v31, v17
	v_mul_f32_e32 v7, v23, v25
	;; [unrolled: 1-line block ×3, first 2 shown]
	v_fmac_f32_e32 v15, v14, v35
	v_mul_f32_e32 v14, v36, v13
	v_fmac_f32_e32 v17, v16, v49
	v_fma_f32 v30, v24, v5, -v7
	v_fmac_f32_e32 v25, v24, v23
	v_add_f32_e32 v5, v40, v46
	v_add_f32_e32 v8, v41, v47
	;; [unrolled: 1-line block ×3, first 2 shown]
	v_sub_f32_e32 v16, v42, v29
	v_add_f32_e32 v23, v43, v45
	v_add_f32_e32 v29, v44, v27
	v_sub_f32_e32 v27, v27, v44
	v_add_f32_e32 v31, v26, v28
	v_sub_f32_e32 v26, v28, v26
	;; [unrolled: 2-line block ×3, first 2 shown]
	v_sub_f32_e32 v33, v5, v29
	v_add_f32_e32 v5, v23, v8
	v_sub_f32_e32 v7, v40, v46
	v_sub_f32_e32 v13, v29, v13
	v_add_f32_e32 v28, v29, v28
	v_sub_f32_e32 v29, v23, v8
	v_sub_f32_e32 v34, v8, v31
	;; [unrolled: 1-line block ×3, first 2 shown]
	v_add_f32_e32 v31, v31, v5
	v_add_f32_e32 v5, v27, v16
	v_sub_f32_e32 v35, v27, v16
	v_sub_f32_e32 v27, v7, v27
	;; [unrolled: 1-line block ×3, first 2 shown]
	v_add_f32_e32 v36, v5, v7
	v_bfe_u32 v7, v50, 16, 8
	v_lshl_or_b32 v7, v7, 3, v38
	global_load_dwordx2 v[7:8], v7, s[16:17]
	ds_read_b64 v[5:6], v6
	v_sub_f32_e32 v24, v43, v45
	v_fmac_f32_e32 v14, v12, v37
	v_sub_f32_e32 v12, v41, v47
	v_add_f32_e32 v37, v26, v24
	v_sub_f32_e32 v38, v26, v24
	v_sub_f32_e32 v26, v12, v26
	;; [unrolled: 1-line block ×3, first 2 shown]
	v_add_f32_e32 v37, v37, v12
	s_waitcnt lgkmcnt(0)
	v_add_f32_e32 v12, v28, v5
	v_add_f32_e32 v40, v31, v6
	v_mov_b32_e32 v41, v12
	v_mul_f32_e32 v5, v40, v11
	v_mul_f32_e32 v6, v12, v11
	v_fmac_f32_e32 v41, 0xbf955555, v28
	v_mul_f32_e32 v11, 0x3f4a47b2, v34
	v_mul_f32_e32 v28, 0xbf08b237, v35
	v_fma_f32 v5, v12, v9, -v5
	v_fmac_f32_e32 v6, v40, v9
	v_fmac_f32_e32 v40, 0xbf955555, v31
	v_mul_f32_e32 v9, 0x3f4a47b2, v33
	v_mul_f32_e32 v31, 0xbf08b237, v38
	v_fma_f32 v33, v29, s7, -v11
	v_fmac_f32_e32 v11, 0x3d64c772, v23
	v_fma_f32 v34, v16, s6, -v28
	v_fmac_f32_e32 v28, 0x3eae86e6, v27
	;; [unrolled: 2-line block ×4, first 2 shown]
	v_add_f32_e32 v42, v11, v40
	v_fmac_f32_e32 v28, 0x3ee1c552, v36
	v_add_f32_e32 v38, v9, v41
	v_fmac_f32_e32 v31, 0x3ee1c552, v37
	v_sub_f32_e32 v43, v42, v28
	v_add_f32_e32 v11, v31, v38
	v_mul_f32_e32 v9, v43, v10
	v_fma_f32 v9, v11, v18, -v9
	v_mul_f32_e32 v10, v11, v10
	v_mul_f32_e32 v11, 0x3f5ff5aa, v16
	v_fmac_f32_e32 v10, v43, v18
	v_fma_f32 v18, v27, s13, -v11
	v_mul_f32_e32 v11, 0x3f5ff5aa, v24
	v_fma_f32 v24, v26, s13, -v11
	v_add_f32_e32 v27, v33, v40
	v_fmac_f32_e32 v18, 0x3ee1c552, v36
	v_add_f32_e32 v26, v12, v41
	v_fmac_f32_e32 v24, 0x3ee1c552, v37
	v_sub_f32_e32 v16, v27, v18
	v_add_f32_e32 v12, v24, v26
	v_mul_f32_e32 v11, v16, v15
	v_fma_f32 v11, v12, v19, -v11
	v_mul_f32_e32 v12, v12, v15
	v_mul_f32_e32 v15, 0x3d64c772, v23
	;; [unrolled: 1-line block ×3, first 2 shown]
	v_fma_f32 v15, v29, s12, -v15
	v_fma_f32 v13, v32, s12, -v13
	v_add_f32_e32 v15, v15, v40
	v_fmac_f32_e32 v34, 0x3ee1c552, v36
	v_fmac_f32_e32 v12, v16, v19
	v_add_f32_e32 v16, v13, v41
	v_fmac_f32_e32 v35, 0x3ee1c552, v37
	v_add_f32_e32 v23, v34, v15
	v_sub_f32_e32 v19, v16, v35
	v_mul_f32_e32 v13, v23, v14
	v_fma_f32 v13, v19, v20, -v13
	v_mul_f32_e32 v14, v19, v14
	v_sub_f32_e32 v19, v15, v34
	v_add_f32_e32 v16, v35, v16
	v_mul_f32_e32 v15, v19, v17
	v_fma_f32 v15, v16, v21, -v15
	v_mul_f32_e32 v16, v16, v17
	v_fmac_f32_e32 v14, v23, v20
	v_fmac_f32_e32 v16, v19, v21
	v_sub_f32_e32 v19, v26, v24
	v_add_f32_e32 v20, v18, v27
	v_mul_f32_e32 v17, v20, v25
	v_mul_f32_e32 v18, v19, v25
	v_fma_f32 v17, v19, v30, -v17
	s_waitcnt vmcnt(0)
	v_mul_f32_e32 v21, v39, v8
	v_mul_f32_e32 v8, v22, v8
	v_fmac_f32_e32 v18, v20, v30
	v_sub_f32_e32 v19, v38, v31
	v_add_f32_e32 v20, v28, v42
	v_fmac_f32_e32 v8, v7, v39
	v_fma_f32 v21, v7, v22, -v21
	v_mul_f32_e32 v7, v20, v8
	v_mul_f32_e32 v8, v19, v8
	v_fma_f32 v7, v19, v21, -v7
	v_fmac_f32_e32 v8, v20, v21
	s_barrier
	ds_write2_b64 v0, v[5:6], v[9:10] offset1:49
	ds_write2_b64 v0, v[11:12], v[13:14] offset0:98 offset1:147
	ds_write2_b64 v0, v[15:16], v[17:18] offset0:196 offset1:245
	ds_write_b64 v0, v[7:8] offset:2352
	s_waitcnt lgkmcnt(0)
	s_barrier
	s_and_saveexec_b64 s[6:7], s[0:1]
	s_cbranch_execz .LBB0_16
; %bb.15:
	v_mad_u64_u32 v[7:8], s[6:7], s10, v3, 0
	s_mul_i32 s0, s3, s24
	s_mul_hi_u32 s1, s2, s24
	s_add_i32 s1, s1, s0
	s_mul_i32 s0, s2, s24
	v_mad_u64_u32 v[9:10], s[2:3], s8, v1, 0
	v_mov_b32_e32 v0, v8
	v_mad_u64_u32 v[5:6], s[2:3], s11, v3, v[0:1]
	v_mov_b32_e32 v0, v10
	v_mad_u64_u32 v[10:11], s[2:3], s9, v1, v[0:1]
	s_lshl_b64 s[0:1], s[0:1], 3
	s_add_u32 s2, s14, s0
	v_mov_b32_e32 v8, v5
	s_addc_u32 s3, s15, s1
	s_lshl_b64 s[0:1], s[4:5], 3
	v_mul_u32_u24_e32 v0, 0xab8, v3
	s_add_u32 s0, s2, s0
	v_lshlrev_b64 v[7:8], 3, v[7:8]
	v_add3_u32 v11, 0, v0, v4
	s_addc_u32 s1, s3, s1
	ds_read2_b64 v[3:6], v11 offset1:49
	v_mov_b32_e32 v0, s1
	v_add_co_u32_e32 v12, vcc, s0, v7
	v_addc_co_u32_e32 v13, vcc, v0, v8, vcc
	v_lshlrev_b64 v[7:8], 3, v[9:10]
	v_mad_u64_u32 v[9:10], s[0:1], s8, v2, 0
	v_add_co_u32_e32 v7, vcc, v12, v7
	v_addc_co_u32_e32 v8, vcc, v13, v8, vcc
	s_waitcnt lgkmcnt(0)
	global_store_dwordx2 v[7:8], v[3:4], off
	v_mov_b32_e32 v0, v10
	v_add_u32_e32 v4, 0x62, v1
	v_mad_u64_u32 v[2:3], s[0:1], s9, v2, v[0:1]
	v_mad_u64_u32 v[7:8], s[0:1], s8, v4, 0
	v_mov_b32_e32 v10, v2
	v_lshlrev_b64 v[2:3], 3, v[9:10]
	v_mov_b32_e32 v0, v8
	v_mad_u64_u32 v[8:9], s[0:1], s9, v4, v[0:1]
	v_add_co_u32_e32 v2, vcc, v12, v2
	v_addc_co_u32_e32 v3, vcc, v13, v3, vcc
	v_add_u32_e32 v10, 0x93, v1
	global_store_dwordx2 v[2:3], v[5:6], off
	ds_read2_b64 v[2:5], v11 offset0:98 offset1:147
	v_lshlrev_b64 v[6:7], 3, v[7:8]
	v_mad_u64_u32 v[8:9], s[0:1], s8, v10, 0
	v_add_co_u32_e32 v6, vcc, v12, v6
	v_addc_co_u32_e32 v7, vcc, v13, v7, vcc
	v_mov_b32_e32 v0, v9
	s_waitcnt lgkmcnt(0)
	global_store_dwordx2 v[6:7], v[2:3], off
	v_mad_u64_u32 v[2:3], s[0:1], s9, v10, v[0:1]
	v_add_u32_e32 v10, 0xc4, v1
	v_mad_u64_u32 v[6:7], s[0:1], s8, v10, 0
	v_mov_b32_e32 v9, v2
	v_lshlrev_b64 v[2:3], 3, v[8:9]
	v_mov_b32_e32 v0, v7
	v_mad_u64_u32 v[7:8], s[0:1], s9, v10, v[0:1]
	v_add_co_u32_e32 v2, vcc, v12, v2
	v_addc_co_u32_e32 v3, vcc, v13, v3, vcc
	v_add_u32_e32 v10, 0xf5, v1
	global_store_dwordx2 v[2:3], v[4:5], off
	ds_read2_b64 v[2:5], v11 offset0:196 offset1:245
	v_mad_u64_u32 v[8:9], s[0:1], s8, v10, 0
	v_lshlrev_b64 v[6:7], 3, v[6:7]
	v_add_co_u32_e32 v6, vcc, v12, v6
	v_addc_co_u32_e32 v7, vcc, v13, v7, vcc
	v_mov_b32_e32 v0, v9
	s_waitcnt lgkmcnt(0)
	global_store_dwordx2 v[6:7], v[2:3], off
	v_mad_u64_u32 v[2:3], s[0:1], s9, v10, v[0:1]
	v_add_u32_e32 v6, 0x126, v1
	v_mad_u64_u32 v[0:1], s[0:1], s8, v6, 0
	v_mov_b32_e32 v9, v2
	v_lshlrev_b64 v[2:3], 3, v[8:9]
	v_mad_u64_u32 v[6:7], s[0:1], s9, v6, v[1:2]
	v_add_co_u32_e32 v1, vcc, v12, v2
	v_addc_co_u32_e32 v2, vcc, v13, v3, vcc
	global_store_dwordx2 v[1:2], v[4:5], off
	v_mov_b32_e32 v1, v6
	ds_read_b64 v[2:3], v11 offset:2352
	v_lshlrev_b64 v[0:1], 3, v[0:1]
	v_add_co_u32_e32 v0, vcc, v12, v0
	v_addc_co_u32_e32 v1, vcc, v13, v1, vcc
	s_waitcnt lgkmcnt(0)
	global_store_dwordx2 v[0:1], v[2:3], off
.LBB0_16:
	s_endpgm
	.section	.rodata,"a",@progbits
	.p2align	6, 0x0
	.amdhsa_kernel fft_rtc_fwd_len343_factors_7_7_7_wgs_245_tpt_49_sp_op_CI_CI_sbcc_twdbase8_3step
		.amdhsa_group_segment_fixed_size 0
		.amdhsa_private_segment_fixed_size 0
		.amdhsa_kernarg_size 112
		.amdhsa_user_sgpr_count 6
		.amdhsa_user_sgpr_private_segment_buffer 1
		.amdhsa_user_sgpr_dispatch_ptr 0
		.amdhsa_user_sgpr_queue_ptr 0
		.amdhsa_user_sgpr_kernarg_segment_ptr 1
		.amdhsa_user_sgpr_dispatch_id 0
		.amdhsa_user_sgpr_flat_scratch_init 0
		.amdhsa_user_sgpr_private_segment_size 0
		.amdhsa_uses_dynamic_stack 0
		.amdhsa_system_sgpr_private_segment_wavefront_offset 0
		.amdhsa_system_sgpr_workgroup_id_x 1
		.amdhsa_system_sgpr_workgroup_id_y 0
		.amdhsa_system_sgpr_workgroup_id_z 0
		.amdhsa_system_sgpr_workgroup_info 0
		.amdhsa_system_vgpr_workitem_id 0
		.amdhsa_next_free_vgpr 51
		.amdhsa_next_free_sgpr 57
		.amdhsa_reserve_vcc 1
		.amdhsa_reserve_flat_scratch 0
		.amdhsa_float_round_mode_32 0
		.amdhsa_float_round_mode_16_64 0
		.amdhsa_float_denorm_mode_32 3
		.amdhsa_float_denorm_mode_16_64 3
		.amdhsa_dx10_clamp 1
		.amdhsa_ieee_mode 1
		.amdhsa_fp16_overflow 0
		.amdhsa_exception_fp_ieee_invalid_op 0
		.amdhsa_exception_fp_denorm_src 0
		.amdhsa_exception_fp_ieee_div_zero 0
		.amdhsa_exception_fp_ieee_overflow 0
		.amdhsa_exception_fp_ieee_underflow 0
		.amdhsa_exception_fp_ieee_inexact 0
		.amdhsa_exception_int_div_zero 0
	.end_amdhsa_kernel
	.text
.Lfunc_end0:
	.size	fft_rtc_fwd_len343_factors_7_7_7_wgs_245_tpt_49_sp_op_CI_CI_sbcc_twdbase8_3step, .Lfunc_end0-fft_rtc_fwd_len343_factors_7_7_7_wgs_245_tpt_49_sp_op_CI_CI_sbcc_twdbase8_3step
                                        ; -- End function
	.section	.AMDGPU.csdata,"",@progbits
; Kernel info:
; codeLenInByte = 6052
; NumSgprs: 61
; NumVgprs: 51
; ScratchSize: 0
; MemoryBound: 0
; FloatMode: 240
; IeeeMode: 1
; LDSByteSize: 0 bytes/workgroup (compile time only)
; SGPRBlocks: 7
; VGPRBlocks: 12
; NumSGPRsForWavesPerEU: 61
; NumVGPRsForWavesPerEU: 51
; Occupancy: 4
; WaveLimiterHint : 1
; COMPUTE_PGM_RSRC2:SCRATCH_EN: 0
; COMPUTE_PGM_RSRC2:USER_SGPR: 6
; COMPUTE_PGM_RSRC2:TRAP_HANDLER: 0
; COMPUTE_PGM_RSRC2:TGID_X_EN: 1
; COMPUTE_PGM_RSRC2:TGID_Y_EN: 0
; COMPUTE_PGM_RSRC2:TGID_Z_EN: 0
; COMPUTE_PGM_RSRC2:TIDIG_COMP_CNT: 0
	.type	__hip_cuid_ffd0d9dec1f5c491,@object ; @__hip_cuid_ffd0d9dec1f5c491
	.section	.bss,"aw",@nobits
	.globl	__hip_cuid_ffd0d9dec1f5c491
__hip_cuid_ffd0d9dec1f5c491:
	.byte	0                               ; 0x0
	.size	__hip_cuid_ffd0d9dec1f5c491, 1

	.ident	"AMD clang version 19.0.0git (https://github.com/RadeonOpenCompute/llvm-project roc-6.4.0 25133 c7fe45cf4b819c5991fe208aaa96edf142730f1d)"
	.section	".note.GNU-stack","",@progbits
	.addrsig
	.addrsig_sym __hip_cuid_ffd0d9dec1f5c491
	.amdgpu_metadata
---
amdhsa.kernels:
  - .args:
      - .actual_access:  read_only
        .address_space:  global
        .offset:         0
        .size:           8
        .value_kind:     global_buffer
      - .address_space:  global
        .offset:         8
        .size:           8
        .value_kind:     global_buffer
      - .offset:         16
        .size:           8
        .value_kind:     by_value
      - .actual_access:  read_only
        .address_space:  global
        .offset:         24
        .size:           8
        .value_kind:     global_buffer
      - .actual_access:  read_only
        .address_space:  global
        .offset:         32
        .size:           8
        .value_kind:     global_buffer
      - .actual_access:  read_only
        .address_space:  global
        .offset:         40
        .size:           8
        .value_kind:     global_buffer
      - .offset:         48
        .size:           8
        .value_kind:     by_value
      - .actual_access:  read_only
        .address_space:  global
        .offset:         56
        .size:           8
        .value_kind:     global_buffer
      - .actual_access:  read_only
        .address_space:  global
        .offset:         64
        .size:           8
        .value_kind:     global_buffer
      - .offset:         72
        .size:           4
        .value_kind:     by_value
      - .actual_access:  read_only
        .address_space:  global
        .offset:         80
        .size:           8
        .value_kind:     global_buffer
      - .actual_access:  read_only
        .address_space:  global
        .offset:         88
        .size:           8
        .value_kind:     global_buffer
      - .actual_access:  read_only
        .address_space:  global
        .offset:         96
        .size:           8
        .value_kind:     global_buffer
      - .actual_access:  write_only
        .address_space:  global
        .offset:         104
        .size:           8
        .value_kind:     global_buffer
    .group_segment_fixed_size: 0
    .kernarg_segment_align: 8
    .kernarg_segment_size: 112
    .language:       OpenCL C
    .language_version:
      - 2
      - 0
    .max_flat_workgroup_size: 245
    .name:           fft_rtc_fwd_len343_factors_7_7_7_wgs_245_tpt_49_sp_op_CI_CI_sbcc_twdbase8_3step
    .private_segment_fixed_size: 0
    .sgpr_count:     61
    .sgpr_spill_count: 0
    .symbol:         fft_rtc_fwd_len343_factors_7_7_7_wgs_245_tpt_49_sp_op_CI_CI_sbcc_twdbase8_3step.kd
    .uniform_work_group_size: 1
    .uses_dynamic_stack: false
    .vgpr_count:     51
    .vgpr_spill_count: 0
    .wavefront_size: 64
amdhsa.target:   amdgcn-amd-amdhsa--gfx906
amdhsa.version:
  - 1
  - 2
...

	.end_amdgpu_metadata
